;; amdgpu-corpus repo=ROCm/rocFFT kind=compiled arch=gfx1100 opt=O3
	.text
	.amdgcn_target "amdgcn-amd-amdhsa--gfx1100"
	.amdhsa_code_object_version 6
	.protected	fft_rtc_back_len128_factors_4_2_2_8_wgs_128_tpt_8_dim2_dp_op_CI_CI_unitstride_sbrc_aligned_dirReg ; -- Begin function fft_rtc_back_len128_factors_4_2_2_8_wgs_128_tpt_8_dim2_dp_op_CI_CI_unitstride_sbrc_aligned_dirReg
	.globl	fft_rtc_back_len128_factors_4_2_2_8_wgs_128_tpt_8_dim2_dp_op_CI_CI_unitstride_sbrc_aligned_dirReg
	.p2align	8
	.type	fft_rtc_back_len128_factors_4_2_2_8_wgs_128_tpt_8_dim2_dp_op_CI_CI_unitstride_sbrc_aligned_dirReg,@function
fft_rtc_back_len128_factors_4_2_2_8_wgs_128_tpt_8_dim2_dp_op_CI_CI_unitstride_sbrc_aligned_dirReg: ; @fft_rtc_back_len128_factors_4_2_2_8_wgs_128_tpt_8_dim2_dp_op_CI_CI_unitstride_sbrc_aligned_dirReg
; %bb.0:
	s_load_b256 s[4:11], s[0:1], 0x0
	s_waitcnt lgkmcnt(0)
	s_load_b32 s2, s[6:7], 0x8
	s_load_b128 s[16:19], s[8:9], 0x8
	s_load_b128 s[8:11], s[10:11], 0x8
	s_waitcnt lgkmcnt(0)
	s_add_i32 s2, s2, -1
	s_delay_alu instid0(SALU_CYCLE_1) | instskip(NEXT) | instid1(SALU_CYCLE_1)
	s_lshr_b32 s2, s2, 4
	s_add_i32 s7, s2, 1
	s_not_b32 s2, s2
	v_cvt_f32_u32_e32 v1, s7
	s_delay_alu instid0(VALU_DEP_1) | instskip(SKIP_2) | instid1(VALU_DEP_1)
	v_rcp_iflag_f32_e32 v1, v1
	s_waitcnt_depctr 0xfff
	v_mul_f32_e32 v1, 0x4f7ffffe, v1
	v_cvt_u32_f32_e32 v1, v1
	s_delay_alu instid0(VALU_DEP_1) | instskip(SKIP_1) | instid1(VALU_DEP_2)
	v_readfirstlane_b32 s3, v1
	v_lshlrev_b32_e32 v1, 4, v0
	s_mul_i32 s2, s2, s3
	s_delay_alu instid0(SALU_CYCLE_1) | instskip(NEXT) | instid1(SALU_CYCLE_1)
	s_mul_hi_u32 s2, s3, s2
	s_add_i32 s3, s3, s2
	s_delay_alu instid0(SALU_CYCLE_1) | instskip(NEXT) | instid1(SALU_CYCLE_1)
	s_mul_hi_u32 s6, s15, s3
	s_mul_i32 s2, s6, s7
	s_add_i32 s12, s6, 1
	s_sub_i32 s9, s15, s2
	s_load_b128 s[0:3], s[0:1], 0x50
	s_sub_i32 s13, s9, s7
	s_cmp_ge_u32 s9, s7
	s_cselect_b32 s6, s12, s6
	s_cselect_b32 s9, s13, s9
	s_add_i32 s12, s6, 1
	s_cmp_ge_u32 s9, s7
	s_mov_b32 s13, 0
	s_cselect_b32 s6, s12, s6
	s_delay_alu instid0(SALU_CYCLE_1)
	s_mul_i32 s7, s6, s7
	s_mul_i32 s9, s19, s6
	s_mul_hi_u32 s12, s18, s6
	s_mul_i32 s14, s18, s6
	s_sub_i32 s18, s15, s7
	s_add_i32 s15, s12, s9
	s_mul_i32 s11, s11, s6
	s_mul_hi_u32 s17, s10, s6
	s_lshl_b32 s9, s18, 4
	s_lshl_b64 s[14:15], s[14:15], 4
	s_add_i32 s7, s17, s11
	s_mul_i32 s12, s9, s16
	s_waitcnt lgkmcnt(0)
	s_add_u32 s11, s0, s14
	s_addc_u32 s14, s1, s15
	s_lshl_b64 s[0:1], s[12:13], 4
	s_mov_b32 s17, s13
	s_add_u32 s0, s11, s0
	s_addc_u32 s1, s14, s1
	v_add_co_u32 v48, s11, s0, v1
	s_delay_alu instid0(VALU_DEP_1) | instskip(SKIP_2) | instid1(VALU_DEP_2)
	v_add_co_ci_u32_e64 v49, null, s1, 0, s11
	s_lshl_b64 s[18:19], s[16:17], 4
	s_add_i32 s12, s16, s16
	v_add_co_u32 v6, vcc_lo, v48, s18
	s_lshl_b64 s[14:15], s[12:13], 4
	s_add_i32 s12, s12, s16
	v_add_co_ci_u32_e32 v7, vcc_lo, s19, v49, vcc_lo
	v_add_co_u32 v10, vcc_lo, v48, s14
	s_lshl_b64 s[20:21], s[12:13], 4
	s_add_i32 s12, s12, s16
	v_add_co_ci_u32_e32 v11, vcc_lo, s15, v49, vcc_lo
	v_add_co_u32 v14, vcc_lo, v48, s20
	s_lshl_b64 s[22:23], s[12:13], 4
	s_add_i32 s12, s12, s16
	v_add_co_ci_u32_e32 v15, vcc_lo, s21, v49, vcc_lo
	v_add_co_u32 v18, vcc_lo, v48, s22
	s_lshl_b64 s[14:15], s[12:13], 4
	s_add_i32 s12, s12, s16
	v_add_co_ci_u32_e32 v19, vcc_lo, s23, v49, vcc_lo
	v_add_co_u32 v22, vcc_lo, v48, s14
	s_lshl_b64 s[18:19], s[12:13], 4
	s_add_i32 s12, s12, s16
	v_add_co_ci_u32_e32 v23, vcc_lo, s15, v49, vcc_lo
	v_add_co_u32 v26, vcc_lo, v48, s18
	s_lshl_b64 s[14:15], s[12:13], 4
	s_add_i32 s12, s12, s16
	v_add_co_ci_u32_e32 v27, vcc_lo, s19, v49, vcc_lo
	v_add_co_u32 v30, vcc_lo, v48, s14
	s_clause 0x3
	global_load_b128 v[2:5], v1, s[0:1]
	global_load_b128 v[6:9], v[6:7], off
	global_load_b128 v[10:13], v[10:11], off
	;; [unrolled: 1-line block ×3, first 2 shown]
	s_lshl_b64 s[0:1], s[12:13], 4
	s_add_i32 s12, s12, s16
	v_add_co_ci_u32_e32 v31, vcc_lo, s15, v49, vcc_lo
	v_add_co_u32 v34, vcc_lo, v48, s0
	s_lshl_b64 s[14:15], s[12:13], 4
	s_add_i32 s12, s12, s16
	v_add_co_ci_u32_e32 v35, vcc_lo, s1, v49, vcc_lo
	v_add_co_u32 v38, vcc_lo, v48, s14
	;; [unrolled: 4-line block ×5, first 2 shown]
	s_lshl_b64 s[14:15], s[12:13], 4
	v_add_co_ci_u32_e32 v47, vcc_lo, s1, v49, vcc_lo
	s_add_i32 s12, s12, s16
	v_add_co_u32 v60, vcc_lo, v48, s14
	s_lshl_b64 s[0:1], s[12:13], 4
	v_add_co_ci_u32_e32 v61, vcc_lo, s15, v49, vcc_lo
	s_add_i32 s12, s12, s16
	v_add_co_u32 v64, vcc_lo, v48, s0
	v_add_co_ci_u32_e32 v65, vcc_lo, s1, v49, vcc_lo
	s_lshl_b64 s[0:1], s[12:13], 4
	s_clause 0x1
	global_load_b128 v[18:21], v[18:19], off
	global_load_b128 v[22:25], v[22:23], off
	v_add_co_u32 v68, vcc_lo, v48, s0
	v_add_co_ci_u32_e32 v69, vcc_lo, s1, v49, vcc_lo
	s_clause 0x9
	global_load_b128 v[26:29], v[26:27], off
	global_load_b128 v[30:33], v[30:31], off
	;; [unrolled: 1-line block ×10, first 2 shown]
	v_and_b32_e32 v44, 15, v0
	v_lshrrev_b32_e32 v45, 4, v0
	v_lshl_add_u32 v43, v0, 8, 0
	s_mul_i32 s6, s10, s6
	s_waitcnt vmcnt(15)
	ds_store_b128 v43, v[2:5]
	s_waitcnt vmcnt(14)
	ds_store_b128 v43, v[6:9] offset:16
	s_waitcnt vmcnt(13)
	ds_store_b128 v43, v[10:13] offset:32
	;; [unrolled: 2-line block ×15, first 2 shown]
	v_lshlrev_b32_e32 v42, 8, v45
	v_lshlrev_b32_e32 v1, 4, v44
	s_waitcnt lgkmcnt(0)
	s_barrier
	buffer_gl0_inv
	v_or_b32_e32 v46, 8, v45
	v_add3_u32 v47, 0, v42, v1
	ds_load_b128 v[2:5], v47 offset:16384
	ds_load_b128 v[6:9], v47
	ds_load_b128 v[10:13], v47 offset:8192
	ds_load_b128 v[14:17], v47 offset:24576
	;; [unrolled: 1-line block ×14, first 2 shown]
	s_waitcnt lgkmcnt(0)
	s_barrier
	buffer_gl0_inv
	v_or_b32_e32 v91, 32, v45
	v_or_b32_e32 v92, 40, v45
	v_add_f64 v[2:3], v[6:7], -v[2:3]
	v_add_f64 v[42:43], v[8:9], -v[4:5]
	;; [unrolled: 1-line block ×16, first 2 shown]
	v_or_b32_e32 v93, 48, v45
	v_or_b32_e32 v94, 56, v45
	s_lshl_b64 s[0:1], s[6:7], 4
	v_fma_f64 v[54:55], v[6:7], 2.0, -v[2:3]
	v_fma_f64 v[60:61], v[8:9], 2.0, -v[42:43]
	;; [unrolled: 1-line block ×16, first 2 shown]
	v_add_f64 v[5:6], v[2:3], v[4:5]
	v_add_f64 v[7:8], v[42:43], -v[14:15]
	v_add_f64 v[9:10], v[72:73], v[16:17]
	v_bfe_u32 v4, v0, 4, 2
	v_lshlrev_b32_e32 v41, 10, v46
	s_delay_alu instid0(VALU_DEP_1)
	v_add3_u32 v41, 0, v41, v1
	v_add_f64 v[13:14], v[54:55], -v[34:35]
	v_add_f64 v[15:16], v[60:61], -v[11:12]
	;; [unrolled: 1-line block ×5, first 2 shown]
	v_add_f64 v[21:22], v[76:77], v[24:25]
	v_add_f64 v[23:24], v[78:79], -v[30:31]
	v_add_f64 v[25:26], v[70:71], -v[26:27]
	;; [unrolled: 1-line block ×3, first 2 shown]
	v_add_f64 v[29:30], v[80:81], v[32:33]
	v_add_f64 v[31:32], v[82:83], -v[52:53]
	v_add_f64 v[33:34], v[86:87], -v[36:37]
	;; [unrolled: 1-line block ×3, first 2 shown]
	v_fma_f64 v[37:38], v[2:3], 2.0, -v[5:6]
	v_fma_f64 v[39:40], v[42:43], 2.0, -v[7:8]
	;; [unrolled: 1-line block ×3, first 2 shown]
	v_or_b32_e32 v2, 16, v45
	v_or_b32_e32 v3, 24, v45
	s_delay_alu instid0(VALU_DEP_2) | instskip(NEXT) | instid1(VALU_DEP_2)
	v_lshlrev_b32_e32 v42, 10, v2
	v_lshlrev_b32_e32 v43, 10, v3
	s_delay_alu instid0(VALU_DEP_2) | instskip(NEXT) | instid1(VALU_DEP_2)
	v_add3_u32 v90, 0, v42, v1
	v_add3_u32 v43, 0, v43, v1
	v_fma_f64 v[52:53], v[54:55], 2.0, -v[13:14]
	v_fma_f64 v[54:55], v[60:61], 2.0, -v[15:16]
	;; [unrolled: 1-line block ×13, first 2 shown]
	v_lshlrev_b32_e32 v76, 4, v4
	v_mad_u32_u24 v77, 0x300, v45, v47
	ds_store_b128 v77, v[5:8] offset:768
	ds_store_b128 v77, v[13:16] offset:512
	;; [unrolled: 1-line block ×3, first 2 shown]
	ds_store_b128 v77, v[52:55]
	ds_store_b128 v41, v[56:59]
	ds_store_b128 v41, v[48:51] offset:256
	ds_store_b128 v41, v[17:20] offset:512
	ds_store_b128 v41, v[9:12] offset:768
	ds_store_b128 v90, v[64:67]
	ds_store_b128 v90, v[60:63] offset:256
	ds_store_b128 v90, v[25:28] offset:512
	ds_store_b128 v90, v[21:24] offset:768
	;; [unrolled: 4-line block ×3, first 2 shown]
	s_waitcnt lgkmcnt(0)
	s_barrier
	buffer_gl0_inv
	global_load_b128 v[5:8], v76, s[4:5]
	ds_load_b128 v[9:12], v47 offset:16384
	ds_load_b128 v[13:16], v47 offset:18432
	;; [unrolled: 1-line block ×7, first 2 shown]
	v_mad_i32_i24 v48, 0xfffffd00, v46, v41
	ds_load_b128 v[37:40], v47 offset:30720
	ds_load_b128 v[52:55], v47
	ds_load_b128 v[56:59], v48
	v_lshlrev_b32_e32 v51, 8, v91
	s_waitcnt vmcnt(0) lgkmcnt(9)
	v_mul_f64 v[41:42], v[11:12], v[7:8]
	v_mul_f64 v[49:50], v[9:10], v[7:8]
	s_waitcnt lgkmcnt(8)
	v_mul_f64 v[60:61], v[15:16], v[7:8]
	v_mul_f64 v[62:63], v[13:14], v[7:8]
	s_waitcnt lgkmcnt(7)
	;; [unrolled: 3-line block ×7, first 2 shown]
	v_mul_f64 v[84:85], v[39:40], v[7:8]
	v_mul_f64 v[7:8], v[37:38], v[7:8]
	v_fma_f64 v[41:42], v[9:10], v[5:6], v[41:42]
	v_fma_f64 v[86:87], v[11:12], v[5:6], -v[49:50]
	v_fma_f64 v[60:61], v[13:14], v[5:6], v[60:61]
	v_fma_f64 v[62:63], v[15:16], v[5:6], -v[62:63]
	;; [unrolled: 2-line block ×8, first 2 shown]
	v_mad_i32_i24 v49, 0xfffffd00, v2, v90
	v_mad_i32_i24 v5, 0xfffffd00, v3, v43
	v_lshlrev_b32_e32 v6, 8, v92
	v_lshlrev_b32_e32 v7, 8, v93
	v_add3_u32 v50, 0, v51, v1
	v_lshlrev_b32_e32 v20, 8, v94
	ds_load_b128 v[8:11], v49
	ds_load_b128 v[12:15], v5
	v_add3_u32 v6, 0, v6, v1
	v_add3_u32 v51, 0, v7, v1
	ds_load_b128 v[16:19], v50
	v_add3_u32 v7, 0, v20, v1
	ds_load_b128 v[20:23], v6
	ds_load_b128 v[24:27], v51
	;; [unrolled: 1-line block ×3, first 2 shown]
	v_lshlrev_b32_e32 v2, 1, v2
	v_lshlrev_b32_e32 v3, 1, v3
	s_waitcnt lgkmcnt(0)
	s_barrier
	buffer_gl0_inv
	v_and_or_b32 v2, v2, 40, v4
	v_and_or_b32 v3, v3, 56, v4
	v_add_f64 v[32:33], v[52:53], -v[41:42]
	v_add_f64 v[34:35], v[54:55], -v[86:87]
	;; [unrolled: 1-line block ×16, first 2 shown]
	v_lshrrev_b32_e32 v80, 3, v0
	v_lshlrev_b32_e32 v82, 1, v46
	v_lshlrev_b32_e32 v81, 1, v91
	;; [unrolled: 1-line block ×5, first 2 shown]
	v_and_or_b32 v80, v80, 8, v4
	v_and_or_b32 v82, v82, 24, v4
	;; [unrolled: 1-line block ×6, first 2 shown]
	v_lshlrev_b32_e32 v80, 8, v80
	v_lshlrev_b32_e32 v82, 8, v82
	;; [unrolled: 1-line block ×8, first 2 shown]
	v_and_b32_e32 v0, 0x70, v0
	v_add3_u32 v80, 0, v80, v1
	v_fma_f64 v[52:53], v[52:53], 2.0, -v[32:33]
	v_fma_f64 v[54:55], v[54:55], 2.0, -v[34:35]
	;; [unrolled: 1-line block ×16, first 2 shown]
	v_add3_u32 v82, 0, v82, v1
	v_add3_u32 v2, 0, v2, v1
	;; [unrolled: 1-line block ×7, first 2 shown]
	ds_store_b128 v80, v[32:35] offset:1024
	ds_store_b128 v80, v[52:55]
	ds_store_b128 v82, v[56:59]
	ds_store_b128 v82, v[36:39] offset:1024
	ds_store_b128 v2, v[8:11]
	ds_store_b128 v2, v[40:43] offset:1024
	;; [unrolled: 2-line block ×7, first 2 shown]
	s_waitcnt lgkmcnt(0)
	s_barrier
	buffer_gl0_inv
	global_load_b128 v[0:3], v0, s[4:5] offset:64
	ds_load_b128 v[8:11], v47 offset:16384
	ds_load_b128 v[12:15], v47 offset:18432
	;; [unrolled: 1-line block ×8, first 2 shown]
	ds_load_b128 v[40:43], v47
	ds_load_b128 v[52:55], v48
	s_waitcnt vmcnt(0) lgkmcnt(9)
	v_mul_f64 v[56:57], v[10:11], v[2:3]
	v_mul_f64 v[58:59], v[8:9], v[2:3]
	s_waitcnt lgkmcnt(8)
	v_mul_f64 v[60:61], v[14:15], v[2:3]
	v_mul_f64 v[62:63], v[12:13], v[2:3]
	s_waitcnt lgkmcnt(7)
	v_mul_f64 v[64:65], v[18:19], v[2:3]
	v_mul_f64 v[66:67], v[16:17], v[2:3]
	s_waitcnt lgkmcnt(6)
	v_mul_f64 v[68:69], v[22:23], v[2:3]
	v_mul_f64 v[70:71], v[20:21], v[2:3]
	s_waitcnt lgkmcnt(5)
	v_mul_f64 v[72:73], v[26:27], v[2:3]
	v_mul_f64 v[74:75], v[24:25], v[2:3]
	s_waitcnt lgkmcnt(4)
	v_mul_f64 v[76:77], v[30:31], v[2:3]
	v_mul_f64 v[78:79], v[28:29], v[2:3]
	s_waitcnt lgkmcnt(3)
	v_mul_f64 v[80:81], v[34:35], v[2:3]
	v_mul_f64 v[82:83], v[32:33], v[2:3]
	s_waitcnt lgkmcnt(2)
	v_mul_f64 v[84:85], v[38:39], v[2:3]
	v_mul_f64 v[2:3], v[36:37], v[2:3]
	v_fma_f64 v[56:57], v[8:9], v[0:1], v[56:57]
	v_fma_f64 v[58:59], v[10:11], v[0:1], -v[58:59]
	v_fma_f64 v[60:61], v[12:13], v[0:1], v[60:61]
	v_fma_f64 v[62:63], v[14:15], v[0:1], -v[62:63]
	;; [unrolled: 2-line block ×8, first 2 shown]
	ds_load_b128 v[0:3], v49
	ds_load_b128 v[8:11], v5
	ds_load_b128 v[12:15], v50
	ds_load_b128 v[16:19], v6
	ds_load_b128 v[20:23], v51
	ds_load_b128 v[4:7], v7
	s_waitcnt lgkmcnt(0)
	s_barrier
	buffer_gl0_inv
	v_add_f64 v[24:25], v[40:41], -v[56:57]
	v_add_f64 v[26:27], v[42:43], -v[58:59]
	;; [unrolled: 1-line block ×16, first 2 shown]
	v_mul_u32_u24_e32 v72, 7, v45
	s_delay_alu instid0(VALU_DEP_1)
	v_lshlrev_b32_e32 v72, 4, v72
	v_fma_f64 v[40:41], v[40:41], 2.0, -v[24:25]
	v_fma_f64 v[42:43], v[42:43], 2.0, -v[26:27]
	;; [unrolled: 1-line block ×16, first 2 shown]
	ds_store_b128 v47, v[24:27] offset:2048
	ds_store_b128 v47, v[40:43]
	ds_store_b128 v47, v[28:31] offset:6144
	ds_store_b128 v47, v[52:55] offset:4096
	;; [unrolled: 1-line block ×14, first 2 shown]
	s_waitcnt lgkmcnt(0)
	s_barrier
	buffer_gl0_inv
	s_clause 0x5
	global_load_b128 v[12:15], v72, s[4:5] offset:192
	global_load_b128 v[8:11], v72, s[4:5] offset:208
	global_load_b128 v[4:7], v72, s[4:5] offset:224
	global_load_b128 v[0:3], v72, s[4:5] offset:240
	global_load_b128 v[20:23], v72, s[4:5] offset:256
	global_load_b128 v[16:19], v72, s[4:5] offset:272
	v_mul_u32_u24_e32 v28, 7, v46
	global_load_b128 v[24:27], v72, s[4:5] offset:288
	v_lshlrev_b32_e32 v60, 4, v28
	s_clause 0x6
	global_load_b128 v[40:43], v60, s[4:5] offset:208
	global_load_b128 v[32:35], v60, s[4:5] offset:192
	;; [unrolled: 1-line block ×7, first 2 shown]
	ds_load_b128 v[64:67], v49
	ds_load_b128 v[68:71], v50
	;; [unrolled: 1-line block ×4, first 2 shown]
	ds_load_b128 v[76:79], v47 offset:16384
	ds_load_b128 v[80:83], v47 offset:20480
	;; [unrolled: 1-line block ×5, first 2 shown]
	s_add_u32 s4, s2, s0
	s_addc_u32 s5, s3, s1
	s_lshl_b32 s6, s8, 4
	s_mov_b32 s0, 0x667f3bcd
	s_mov_b32 s1, 0xbfe6a09e
	;; [unrolled: 1-line block ×4, first 2 shown]
	s_waitcnt vmcnt(13) lgkmcnt(8)
	v_mul_f64 v[96:97], v[66:67], v[14:15]
	v_mul_f64 v[14:15], v[64:65], v[14:15]
	s_waitcnt vmcnt(12) lgkmcnt(7)
	v_mul_f64 v[98:99], v[70:71], v[10:11]
	s_waitcnt vmcnt(10) lgkmcnt(4)
	v_mul_f64 v[106:107], v[78:79], v[2:3]
	v_mul_f64 v[108:109], v[76:77], v[2:3]
	;; [unrolled: 1-line block ×5, first 2 shown]
	s_waitcnt vmcnt(9) lgkmcnt(3)
	v_mul_f64 v[110:111], v[82:83], v[22:23]
	v_mul_f64 v[22:23], v[80:81], v[22:23]
	s_waitcnt vmcnt(8) lgkmcnt(0)
	v_mul_f64 v[112:113], v[94:95], v[18:19]
	v_mul_f64 v[114:115], v[92:93], v[18:19]
	v_fma_f64 v[96:97], v[64:65], v[12:13], v[96:97]
	v_fma_f64 v[14:15], v[66:67], v[12:13], -v[14:15]
	ds_load_b128 v[10:13], v47 offset:28672
	ds_load_b128 v[64:67], v47 offset:10240
	v_fma_f64 v[76:77], v[76:77], v[0:1], v[106:107]
	v_fma_f64 v[0:1], v[78:79], v[0:1], -v[108:109]
	v_fma_f64 v[98:99], v[68:69], v[8:9], v[98:99]
	v_fma_f64 v[100:101], v[70:71], v[8:9], -v[100:101]
	ds_load_b128 v[6:9], v47 offset:26624
	ds_load_b128 v[68:71], v47 offset:14336
	v_fma_f64 v[102:103], v[72:73], v[4:5], v[102:103]
	v_fma_f64 v[104:105], v[74:75], v[4:5], -v[104:105]
	ds_load_b128 v[2:5], v47 offset:30720
	v_fma_f64 v[80:81], v[80:81], v[20:21], v[110:111]
	v_fma_f64 v[22:23], v[82:83], v[20:21], -v[22:23]
	ds_load_b128 v[18:21], v47 offset:6144
	ds_load_b128 v[72:75], v47
	v_fma_f64 v[82:83], v[92:93], v[16:17], v[112:113]
	v_fma_f64 v[16:17], v[94:95], v[16:17], -v[114:115]
	s_waitcnt vmcnt(3)
	v_mul_f64 v[106:107], v[86:87], v[38:39]
	v_mul_f64 v[38:39], v[84:85], v[38:39]
	s_waitcnt lgkmcnt(6)
	v_mul_f64 v[116:117], v[12:13], v[26:27]
	v_mul_f64 v[26:27], v[10:11], v[26:27]
	s_waitcnt lgkmcnt(5)
	;; [unrolled: 3-line block ×3, first 2 shown]
	v_mul_f64 v[94:95], v[68:69], v[30:31]
	v_mul_f64 v[30:31], v[70:71], v[30:31]
	s_waitcnt vmcnt(0) lgkmcnt(2)
	v_mul_f64 v[108:109], v[2:3], v[62:63]
	s_waitcnt lgkmcnt(1)
	v_mul_f64 v[92:93], v[20:21], v[34:35]
	v_mul_f64 v[34:35], v[18:19], v[34:35]
	s_waitcnt lgkmcnt(0)
	v_add_f64 v[0:1], v[74:75], -v[0:1]
	v_add_f64 v[22:23], v[14:15], -v[22:23]
	;; [unrolled: 1-line block ×3, first 2 shown]
	v_fma_f64 v[10:11], v[10:11], v[24:25], v[116:117]
	v_fma_f64 v[12:13], v[12:13], v[24:25], -v[26:27]
	v_mul_f64 v[24:25], v[8:9], v[54:55]
	v_mul_f64 v[26:27], v[6:7], v[54:55]
	;; [unrolled: 1-line block ×3, first 2 shown]
	v_fma_f64 v[64:65], v[64:65], v[40:41], v[78:79]
	v_fma_f64 v[40:41], v[66:67], v[40:41], -v[42:43]
	v_mul_f64 v[42:43], v[88:89], v[58:59]
	v_mul_f64 v[58:59], v[4:5], v[62:63]
	v_fma_f64 v[62:63], v[70:71], v[28:29], -v[94:95]
	v_fma_f64 v[66:67], v[84:85], v[36:37], v[106:107]
	v_fma_f64 v[36:37], v[86:87], v[36:37], -v[38:39]
	v_fma_f64 v[18:19], v[18:19], v[32:33], v[92:93]
	v_fma_f64 v[4:5], v[4:5], v[60:61], -v[108:109]
	v_fma_f64 v[20:21], v[20:21], v[32:33], -v[34:35]
	v_add_f64 v[32:33], v[98:99], -v[82:83]
	v_add_f64 v[34:35], v[96:97], -v[80:81]
	v_fma_f64 v[14:15], v[14:15], 2.0, -v[22:23]
	v_add_f64 v[10:11], v[102:103], -v[10:11]
	v_add_f64 v[12:13], v[104:105], -v[12:13]
	v_fma_f64 v[6:7], v[6:7], v[52:53], v[24:25]
	v_fma_f64 v[8:9], v[8:9], v[52:53], -v[26:27]
	v_fma_f64 v[24:25], v[88:89], v[56:57], v[54:55]
	v_fma_f64 v[26:27], v[68:69], v[28:29], v[30:31]
	v_add_f64 v[30:31], v[72:73], -v[76:77]
	v_fma_f64 v[28:29], v[90:91], v[56:57], -v[42:43]
	v_fma_f64 v[2:3], v[2:3], v[60:61], v[58:59]
	v_fma_f64 v[52:53], v[74:75], 2.0, -v[0:1]
	v_add_f64 v[38:39], v[48:49], -v[66:67]
	v_add_f64 v[36:37], v[50:51], -v[36:37]
	v_fma_f64 v[56:57], v[100:101], 2.0, -v[16:17]
	v_add_f64 v[4:5], v[62:63], -v[4:5]
	v_fma_f64 v[54:55], v[98:99], 2.0, -v[32:33]
	v_fma_f64 v[58:59], v[96:97], 2.0, -v[34:35]
	v_add_f64 v[70:71], v[0:1], -v[32:33]
	v_fma_f64 v[60:61], v[102:103], 2.0, -v[10:11]
	v_fma_f64 v[66:67], v[104:105], 2.0, -v[12:13]
	v_add_f64 v[6:7], v[64:65], -v[6:7]
	v_add_f64 v[8:9], v[40:41], -v[8:9]
	;; [unrolled: 1-line block ×4, first 2 shown]
	v_fma_f64 v[42:43], v[72:73], 2.0, -v[30:31]
	v_add_f64 v[28:29], v[20:21], -v[28:29]
	v_add_f64 v[2:3], v[26:27], -v[2:3]
	v_add_f64 v[68:69], v[30:31], v[16:17]
	v_add_f64 v[16:17], v[34:35], v[12:13]
	v_fma_f64 v[12:13], v[48:49], 2.0, -v[38:39]
	v_fma_f64 v[47:48], v[50:51], 2.0, -v[36:37]
	v_add_f64 v[56:57], v[52:53], -v[56:57]
	v_fma_f64 v[76:77], v[0:1], 2.0, -v[70:71]
	v_add_f64 v[60:61], v[58:59], -v[60:61]
	v_add_f64 v[74:75], v[36:37], -v[6:7]
	v_add_f64 v[72:73], v[38:39], v[8:9]
	v_add_f64 v[32:33], v[24:25], v[4:5]
	v_fma_f64 v[18:19], v[18:19], 2.0, -v[24:25]
	v_fma_f64 v[4:5], v[62:63], 2.0, -v[4:5]
	;; [unrolled: 1-line block ×6, first 2 shown]
	v_add_f64 v[40:41], v[28:29], -v[2:3]
	v_add_f64 v[54:55], v[42:43], -v[54:55]
	;; [unrolled: 1-line block ×3, first 2 shown]
	v_fma_f64 v[66:67], v[30:31], 2.0, -v[68:69]
	v_fma_f64 v[30:31], v[34:35], 2.0, -v[16:17]
	;; [unrolled: 1-line block ×3, first 2 shown]
	v_mov_b32_e32 v65, 0
	v_mul_lo_u32 v2, v45, s8
	v_or_b32_e32 v64, s9, v44
	s_delay_alu instid0(VALU_DEP_3) | instskip(NEXT) | instid1(VALU_DEP_2)
	v_mov_b32_e32 v3, v65
	v_lshlrev_b64 v[44:45], 4, v[64:65]
	s_delay_alu instid0(VALU_DEP_4) | instskip(NEXT) | instid1(VALU_DEP_3)
	v_add_nc_u32_e32 v64, s6, v2
	v_lshlrev_b64 v[2:3], 4, v[2:3]
	s_delay_alu instid0(VALU_DEP_3) | instskip(NEXT) | instid1(VALU_DEP_3)
	v_add_co_u32 v116, vcc_lo, s4, v44
	v_lshlrev_b64 v[49:50], 4, v[64:65]
	v_add_co_ci_u32_e32 v117, vcc_lo, s5, v45, vcc_lo
	s_delay_alu instid0(VALU_DEP_3) | instskip(SKIP_1) | instid1(VALU_DEP_3)
	v_add_co_u32 v86, vcc_lo, v116, v2
	v_add_nc_u32_e32 v64, s6, v64
	v_add_co_ci_u32_e32 v87, vcc_lo, v117, v3, vcc_lo
	v_fma_f64 v[80:81], v[36:37], 2.0, -v[74:75]
	v_fma_f64 v[78:79], v[38:39], 2.0, -v[72:73]
	;; [unrolled: 1-line block ×4, first 2 shown]
	v_add_co_u32 v88, vcc_lo, v116, v49
	v_add_f64 v[24:25], v[18:19], -v[26:27]
	v_add_f64 v[26:27], v[20:21], -v[4:5]
	;; [unrolled: 1-line block ×4, first 2 shown]
	v_fma_f64 v[28:29], v[28:29], 2.0, -v[40:41]
	v_fma_f64 v[6:7], v[16:17], s[2:3], v[68:69]
	v_fma_f64 v[36:37], v[42:43], 2.0, -v[54:55]
	v_fma_f64 v[8:9], v[58:59], 2.0, -v[60:61]
	;; [unrolled: 1-line block ×3, first 2 shown]
	v_fma_f64 v[42:43], v[30:31], s[0:1], v[66:67]
	v_fma_f64 v[44:45], v[22:23], s[0:1], v[76:77]
	v_add_co_ci_u32_e32 v89, vcc_lo, v117, v50, vcc_lo
	v_fma_f64 v[49:50], v[10:11], s[2:3], v[70:71]
	v_fma_f64 v[51:52], v[32:33], s[2:3], v[72:73]
	;; [unrolled: 1-line block ×3, first 2 shown]
	v_lshlrev_b64 v[0:1], 4, v[64:65]
	v_add_nc_u32_e32 v64, s6, v64
	s_delay_alu instid0(VALU_DEP_1) | instskip(SKIP_1) | instid1(VALU_DEP_4)
	v_lshlrev_b64 v[2:3], 4, v[64:65]
	v_add_nc_u32_e32 v64, s6, v64
	v_add_co_u32 v90, vcc_lo, v116, v0
	v_add_co_ci_u32_e32 v91, vcc_lo, v117, v1, vcc_lo
	s_delay_alu instid0(VALU_DEP_3) | instskip(SKIP_3) | instid1(VALU_DEP_3)
	v_lshlrev_b64 v[4:5], 4, v[64:65]
	v_add_nc_u32_e32 v64, s6, v64
	v_add_co_u32 v100, vcc_lo, v116, v2
	v_add_co_ci_u32_e32 v101, vcc_lo, v117, v3, vcc_lo
	v_lshlrev_b64 v[0:1], 4, v[64:65]
	v_add_nc_u32_e32 v64, s6, v64
	v_add_co_u32 v102, vcc_lo, v116, v4
	v_fma_f64 v[18:19], v[18:19], 2.0, -v[24:25]
	v_fma_f64 v[58:59], v[20:21], 2.0, -v[26:27]
	;; [unrolled: 1-line block ×4, first 2 shown]
	v_fma_f64 v[47:48], v[34:35], s[0:1], v[78:79]
	v_fma_f64 v[96:97], v[28:29], s[0:1], v[80:81]
	v_lshlrev_b64 v[2:3], 4, v[64:65]
	v_add_co_ci_u32_e32 v103, vcc_lo, v117, v5, vcc_lo
	v_add_co_u32 v106, vcc_lo, v116, v0
	v_add_co_ci_u32_e32 v107, vcc_lo, v117, v1, vcc_lo
	v_fma_f64 v[0:1], v[10:11], s[2:3], v[6:7]
	v_add_f64 v[8:9], v[36:37], -v[8:9]
	v_add_f64 v[10:11], v[38:39], -v[14:15]
	v_add_co_u32 v108, vcc_lo, v116, v2
	v_fma_f64 v[12:13], v[22:23], s[2:3], v[42:43]
	v_fma_f64 v[14:15], v[30:31], s[0:1], v[44:45]
	v_add_f64 v[4:5], v[54:55], v[62:63]
	v_add_f64 v[6:7], v[56:57], -v[60:61]
	v_add_co_ci_u32_e32 v109, vcc_lo, v117, v3, vcc_lo
	v_fma_f64 v[2:3], v[16:17], s[0:1], v[49:50]
	v_add_f64 v[20:21], v[82:83], v[26:27]
	v_add_f64 v[22:23], v[84:85], -v[24:25]
	v_add_nc_u32_e32 v64, s6, v64
	v_fma_f64 v[16:17], v[40:41], s[2:3], v[51:52]
	s_delay_alu instid0(VALU_DEP_2)
	v_lshlrev_b64 v[104:105], 4, v[64:65]
	v_mul_lo_u32 v64, v46, s8
	v_add_f64 v[24:25], v[92:93], -v[18:19]
	v_add_f64 v[26:27], v[94:95], -v[58:59]
	v_fma_f64 v[28:29], v[28:29], s[2:3], v[47:48]
	v_fma_f64 v[30:31], v[34:35], s[0:1], v[96:97]
	;; [unrolled: 1-line block ×3, first 2 shown]
	v_lshlrev_b64 v[110:111], 4, v[64:65]
	v_add_nc_u32_e32 v64, s6, v64
	v_add_co_u32 v96, vcc_lo, v116, v104
	v_add_co_ci_u32_e32 v97, vcc_lo, v117, v105, vcc_lo
	s_delay_alu instid0(VALU_DEP_3) | instskip(SKIP_3) | instid1(VALU_DEP_3)
	v_lshlrev_b64 v[32:33], 4, v[64:65]
	v_add_nc_u32_e32 v64, s6, v64
	v_add_co_u32 v98, vcc_lo, v116, v110
	v_add_co_ci_u32_e32 v99, vcc_lo, v117, v111, vcc_lo
	v_lshlrev_b64 v[34:35], 4, v[64:65]
	v_add_co_u32 v104, vcc_lo, v116, v32
	v_add_co_ci_u32_e32 v105, vcc_lo, v117, v33, vcc_lo
	v_fma_f64 v[36:37], v[36:37], 2.0, -v[8:9]
	s_delay_alu instid0(VALU_DEP_4)
	v_add_co_u32 v112, vcc_lo, v116, v34
	v_fma_f64 v[38:39], v[38:39], 2.0, -v[10:11]
	v_fma_f64 v[40:41], v[66:67], 2.0, -v[12:13]
	;; [unrolled: 1-line block ×3, first 2 shown]
	v_add_co_ci_u32_e32 v113, vcc_lo, v117, v35, vcc_lo
	v_fma_f64 v[32:33], v[54:55], 2.0, -v[4:5]
	v_fma_f64 v[34:35], v[56:57], 2.0, -v[6:7]
	;; [unrolled: 1-line block ×4, first 2 shown]
	v_add_nc_u32_e32 v64, s6, v64
	v_fma_f64 v[48:49], v[82:83], 2.0, -v[20:21]
	v_fma_f64 v[50:51], v[84:85], 2.0, -v[22:23]
	;; [unrolled: 1-line block ×7, first 2 shown]
	v_lshlrev_b64 v[110:111], 4, v[64:65]
	v_add_nc_u32_e32 v64, s6, v64
	v_fma_f64 v[62:63], v[74:75], 2.0, -v[18:19]
	s_delay_alu instid0(VALU_DEP_2) | instskip(SKIP_3) | instid1(VALU_DEP_3)
	v_lshlrev_b64 v[114:115], 4, v[64:65]
	v_add_nc_u32_e32 v64, s6, v64
	v_add_co_u32 v66, vcc_lo, v116, v110
	v_add_co_ci_u32_e32 v67, vcc_lo, v117, v111, vcc_lo
	v_lshlrev_b64 v[68:69], 4, v[64:65]
	v_add_nc_u32_e32 v64, s6, v64
	v_add_co_u32 v70, vcc_lo, v116, v114
	v_add_co_ci_u32_e32 v71, vcc_lo, v117, v115, vcc_lo
	s_delay_alu instid0(VALU_DEP_3) | instskip(SKIP_3) | instid1(VALU_DEP_3)
	v_lshlrev_b64 v[72:73], 4, v[64:65]
	v_add_nc_u32_e32 v64, s6, v64
	v_add_co_u32 v68, vcc_lo, v116, v68
	v_add_co_ci_u32_e32 v69, vcc_lo, v117, v69, vcc_lo
	v_lshlrev_b64 v[64:65], 4, v[64:65]
	v_add_co_u32 v72, vcc_lo, v116, v72
	v_add_co_ci_u32_e32 v73, vcc_lo, v117, v73, vcc_lo
	s_delay_alu instid0(VALU_DEP_3) | instskip(NEXT) | instid1(VALU_DEP_4)
	v_add_co_u32 v64, vcc_lo, v116, v64
	v_add_co_ci_u32_e32 v65, vcc_lo, v117, v65, vcc_lo
	s_clause 0xf
	global_store_b128 v[86:87], v[36:39], off
	global_store_b128 v[88:89], v[40:43], off
	;; [unrolled: 1-line block ×16, first 2 shown]
	s_nop 0
	s_sendmsg sendmsg(MSG_DEALLOC_VGPRS)
	s_endpgm
	.section	.rodata,"a",@progbits
	.p2align	6, 0x0
	.amdhsa_kernel fft_rtc_back_len128_factors_4_2_2_8_wgs_128_tpt_8_dim2_dp_op_CI_CI_unitstride_sbrc_aligned_dirReg
		.amdhsa_group_segment_fixed_size 0
		.amdhsa_private_segment_fixed_size 0
		.amdhsa_kernarg_size 96
		.amdhsa_user_sgpr_count 15
		.amdhsa_user_sgpr_dispatch_ptr 0
		.amdhsa_user_sgpr_queue_ptr 0
		.amdhsa_user_sgpr_kernarg_segment_ptr 1
		.amdhsa_user_sgpr_dispatch_id 0
		.amdhsa_user_sgpr_private_segment_size 0
		.amdhsa_wavefront_size32 1
		.amdhsa_uses_dynamic_stack 0
		.amdhsa_enable_private_segment 0
		.amdhsa_system_sgpr_workgroup_id_x 1
		.amdhsa_system_sgpr_workgroup_id_y 0
		.amdhsa_system_sgpr_workgroup_id_z 0
		.amdhsa_system_sgpr_workgroup_info 0
		.amdhsa_system_vgpr_workitem_id 0
		.amdhsa_next_free_vgpr 118
		.amdhsa_next_free_sgpr 24
		.amdhsa_reserve_vcc 1
		.amdhsa_float_round_mode_32 0
		.amdhsa_float_round_mode_16_64 0
		.amdhsa_float_denorm_mode_32 3
		.amdhsa_float_denorm_mode_16_64 3
		.amdhsa_dx10_clamp 1
		.amdhsa_ieee_mode 1
		.amdhsa_fp16_overflow 0
		.amdhsa_workgroup_processor_mode 1
		.amdhsa_memory_ordered 1
		.amdhsa_forward_progress 0
		.amdhsa_shared_vgpr_count 0
		.amdhsa_exception_fp_ieee_invalid_op 0
		.amdhsa_exception_fp_denorm_src 0
		.amdhsa_exception_fp_ieee_div_zero 0
		.amdhsa_exception_fp_ieee_overflow 0
		.amdhsa_exception_fp_ieee_underflow 0
		.amdhsa_exception_fp_ieee_inexact 0
		.amdhsa_exception_int_div_zero 0
	.end_amdhsa_kernel
	.text
.Lfunc_end0:
	.size	fft_rtc_back_len128_factors_4_2_2_8_wgs_128_tpt_8_dim2_dp_op_CI_CI_unitstride_sbrc_aligned_dirReg, .Lfunc_end0-fft_rtc_back_len128_factors_4_2_2_8_wgs_128_tpt_8_dim2_dp_op_CI_CI_unitstride_sbrc_aligned_dirReg
                                        ; -- End function
	.section	.AMDGPU.csdata,"",@progbits
; Kernel info:
; codeLenInByte = 6092
; NumSgprs: 26
; NumVgprs: 118
; ScratchSize: 0
; MemoryBound: 0
; FloatMode: 240
; IeeeMode: 1
; LDSByteSize: 0 bytes/workgroup (compile time only)
; SGPRBlocks: 3
; VGPRBlocks: 14
; NumSGPRsForWavesPerEU: 26
; NumVGPRsForWavesPerEU: 118
; Occupancy: 12
; WaveLimiterHint : 1
; COMPUTE_PGM_RSRC2:SCRATCH_EN: 0
; COMPUTE_PGM_RSRC2:USER_SGPR: 15
; COMPUTE_PGM_RSRC2:TRAP_HANDLER: 0
; COMPUTE_PGM_RSRC2:TGID_X_EN: 1
; COMPUTE_PGM_RSRC2:TGID_Y_EN: 0
; COMPUTE_PGM_RSRC2:TGID_Z_EN: 0
; COMPUTE_PGM_RSRC2:TIDIG_COMP_CNT: 0
	.text
	.p2alignl 7, 3214868480
	.fill 96, 4, 3214868480
	.type	__hip_cuid_a9c9b4e57f7e7384,@object ; @__hip_cuid_a9c9b4e57f7e7384
	.section	.bss,"aw",@nobits
	.globl	__hip_cuid_a9c9b4e57f7e7384
__hip_cuid_a9c9b4e57f7e7384:
	.byte	0                               ; 0x0
	.size	__hip_cuid_a9c9b4e57f7e7384, 1

	.ident	"AMD clang version 19.0.0git (https://github.com/RadeonOpenCompute/llvm-project roc-6.4.0 25133 c7fe45cf4b819c5991fe208aaa96edf142730f1d)"
	.section	".note.GNU-stack","",@progbits
	.addrsig
	.addrsig_sym __hip_cuid_a9c9b4e57f7e7384
	.amdgpu_metadata
---
amdhsa.kernels:
  - .args:
      - .actual_access:  read_only
        .address_space:  global
        .offset:         0
        .size:           8
        .value_kind:     global_buffer
      - .actual_access:  read_only
        .address_space:  global
        .offset:         8
        .size:           8
        .value_kind:     global_buffer
      - .actual_access:  read_only
        .address_space:  global
        .offset:         16
        .size:           8
        .value_kind:     global_buffer
      - .actual_access:  read_only
        .address_space:  global
        .offset:         24
        .size:           8
        .value_kind:     global_buffer
      - .offset:         32
        .size:           8
        .value_kind:     by_value
      - .actual_access:  read_only
        .address_space:  global
        .offset:         40
        .size:           8
        .value_kind:     global_buffer
      - .actual_access:  read_only
        .address_space:  global
        .offset:         48
        .size:           8
        .value_kind:     global_buffer
      - .offset:         56
        .size:           4
        .value_kind:     by_value
      - .actual_access:  read_only
        .address_space:  global
        .offset:         64
        .size:           8
        .value_kind:     global_buffer
      - .actual_access:  read_only
        .address_space:  global
        .offset:         72
        .size:           8
        .value_kind:     global_buffer
      - .actual_access:  read_only
        .address_space:  global
        .offset:         80
        .size:           8
        .value_kind:     global_buffer
      - .actual_access:  write_only
        .address_space:  global
        .offset:         88
        .size:           8
        .value_kind:     global_buffer
    .group_segment_fixed_size: 0
    .kernarg_segment_align: 8
    .kernarg_segment_size: 96
    .language:       OpenCL C
    .language_version:
      - 2
      - 0
    .max_flat_workgroup_size: 128
    .name:           fft_rtc_back_len128_factors_4_2_2_8_wgs_128_tpt_8_dim2_dp_op_CI_CI_unitstride_sbrc_aligned_dirReg
    .private_segment_fixed_size: 0
    .sgpr_count:     26
    .sgpr_spill_count: 0
    .symbol:         fft_rtc_back_len128_factors_4_2_2_8_wgs_128_tpt_8_dim2_dp_op_CI_CI_unitstride_sbrc_aligned_dirReg.kd
    .uniform_work_group_size: 1
    .uses_dynamic_stack: false
    .vgpr_count:     118
    .vgpr_spill_count: 0
    .wavefront_size: 32
    .workgroup_processor_mode: 1
amdhsa.target:   amdgcn-amd-amdhsa--gfx1100
amdhsa.version:
  - 1
  - 2
...

	.end_amdgpu_metadata
